;; amdgpu-corpus repo=ROCm/rocFFT kind=compiled arch=gfx906 opt=O3
	.text
	.amdgcn_target "amdgcn-amd-amdhsa--gfx906"
	.amdhsa_code_object_version 6
	.protected	fft_rtc_fwd_len80_factors_5_2_8_wgs_60_tpt_10_halfLds_half_op_CI_CI_unitstride_sbrr_dirReg ; -- Begin function fft_rtc_fwd_len80_factors_5_2_8_wgs_60_tpt_10_halfLds_half_op_CI_CI_unitstride_sbrr_dirReg
	.globl	fft_rtc_fwd_len80_factors_5_2_8_wgs_60_tpt_10_halfLds_half_op_CI_CI_unitstride_sbrr_dirReg
	.p2align	8
	.type	fft_rtc_fwd_len80_factors_5_2_8_wgs_60_tpt_10_halfLds_half_op_CI_CI_unitstride_sbrr_dirReg,@function
fft_rtc_fwd_len80_factors_5_2_8_wgs_60_tpt_10_halfLds_half_op_CI_CI_unitstride_sbrr_dirReg: ; @fft_rtc_fwd_len80_factors_5_2_8_wgs_60_tpt_10_halfLds_half_op_CI_CI_unitstride_sbrr_dirReg
; %bb.0:
	v_mul_u32_u24_e32 v1, 0x199a, v0
	s_load_dwordx4 s[8:11], s[4:5], 0x58
	s_load_dwordx4 s[12:15], s[4:5], 0x0
	;; [unrolled: 1-line block ×3, first 2 shown]
	v_lshrrev_b32_e32 v1, 16, v1
	v_mad_u64_u32 v[6:7], s[0:1], s6, 6, v[1:2]
	v_mov_b32_e32 v10, 0
	s_waitcnt lgkmcnt(0)
	v_cmp_lt_u64_e64 s[0:1], s[14:15], 2
	v_mov_b32_e32 v8, 0
	v_mov_b32_e32 v7, v10
	;; [unrolled: 1-line block ×5, first 2 shown]
	s_and_b64 vcc, exec, s[0:1]
	v_mov_b32_e32 v2, v9
	v_mov_b32_e32 v4, v7
	s_cbranch_vccnz .LBB0_8
; %bb.1:
	s_load_dwordx2 s[0:1], s[4:5], 0x10
	s_add_u32 s2, s18, 8
	s_addc_u32 s3, s19, 0
	s_add_u32 s6, s16, 8
	s_addc_u32 s7, s17, 0
	v_mov_b32_e32 v8, 0
	s_waitcnt lgkmcnt(0)
	s_add_u32 s20, s0, 8
	v_mov_b32_e32 v9, 0
	v_mov_b32_e32 v1, v8
	;; [unrolled: 1-line block ×3, first 2 shown]
	s_addc_u32 s21, s1, 0
	s_mov_b64 s[22:23], 1
	v_mov_b32_e32 v2, v9
	v_mov_b32_e32 v12, v6
.LBB0_2:                                ; =>This Inner Loop Header: Depth=1
	s_load_dwordx2 s[24:25], s[20:21], 0x0
                                        ; implicit-def: $vgpr3_vgpr4
	s_waitcnt lgkmcnt(0)
	v_or_b32_e32 v11, s25, v13
	v_cmp_ne_u64_e32 vcc, 0, v[10:11]
	s_and_saveexec_b64 s[0:1], vcc
	s_xor_b64 s[26:27], exec, s[0:1]
	s_cbranch_execz .LBB0_4
; %bb.3:                                ;   in Loop: Header=BB0_2 Depth=1
	v_cvt_f32_u32_e32 v3, s24
	v_cvt_f32_u32_e32 v4, s25
	s_sub_u32 s0, 0, s24
	s_subb_u32 s1, 0, s25
	v_mac_f32_e32 v3, 0x4f800000, v4
	v_rcp_f32_e32 v3, v3
	v_mul_f32_e32 v3, 0x5f7ffffc, v3
	v_mul_f32_e32 v4, 0x2f800000, v3
	v_trunc_f32_e32 v4, v4
	v_mac_f32_e32 v3, 0xcf800000, v4
	v_cvt_u32_f32_e32 v4, v4
	v_cvt_u32_f32_e32 v3, v3
	v_mul_lo_u32 v5, s0, v4
	v_mul_hi_u32 v7, s0, v3
	v_mul_lo_u32 v14, s1, v3
	v_mul_lo_u32 v11, s0, v3
	v_add_u32_e32 v5, v7, v5
	v_add_u32_e32 v5, v5, v14
	v_mul_hi_u32 v7, v3, v11
	v_mul_lo_u32 v14, v3, v5
	v_mul_hi_u32 v16, v3, v5
	v_mul_hi_u32 v15, v4, v11
	v_mul_lo_u32 v11, v4, v11
	v_mul_hi_u32 v17, v4, v5
	v_add_co_u32_e32 v7, vcc, v7, v14
	v_addc_co_u32_e32 v14, vcc, 0, v16, vcc
	v_mul_lo_u32 v5, v4, v5
	v_add_co_u32_e32 v7, vcc, v7, v11
	v_addc_co_u32_e32 v7, vcc, v14, v15, vcc
	v_addc_co_u32_e32 v11, vcc, 0, v17, vcc
	v_add_co_u32_e32 v5, vcc, v7, v5
	v_addc_co_u32_e32 v7, vcc, 0, v11, vcc
	v_add_co_u32_e32 v3, vcc, v3, v5
	v_addc_co_u32_e32 v4, vcc, v4, v7, vcc
	v_mul_lo_u32 v5, s0, v4
	v_mul_hi_u32 v7, s0, v3
	v_mul_lo_u32 v11, s1, v3
	v_mul_lo_u32 v14, s0, v3
	v_add_u32_e32 v5, v7, v5
	v_add_u32_e32 v5, v5, v11
	v_mul_lo_u32 v15, v3, v5
	v_mul_hi_u32 v16, v3, v14
	v_mul_hi_u32 v17, v3, v5
	;; [unrolled: 1-line block ×3, first 2 shown]
	v_mul_lo_u32 v14, v4, v14
	v_mul_hi_u32 v7, v4, v5
	v_add_co_u32_e32 v15, vcc, v16, v15
	v_addc_co_u32_e32 v16, vcc, 0, v17, vcc
	v_mul_lo_u32 v5, v4, v5
	v_add_co_u32_e32 v14, vcc, v15, v14
	v_addc_co_u32_e32 v11, vcc, v16, v11, vcc
	v_addc_co_u32_e32 v7, vcc, 0, v7, vcc
	v_add_co_u32_e32 v5, vcc, v11, v5
	v_addc_co_u32_e32 v7, vcc, 0, v7, vcc
	v_add_co_u32_e32 v5, vcc, v3, v5
	v_addc_co_u32_e32 v7, vcc, v4, v7, vcc
	v_mad_u64_u32 v[3:4], s[0:1], v12, v7, 0
	v_mul_hi_u32 v11, v12, v5
	v_mad_u64_u32 v[14:15], s[0:1], v13, v7, 0
	v_add_co_u32_e32 v11, vcc, v11, v3
	v_addc_co_u32_e32 v16, vcc, 0, v4, vcc
	v_mad_u64_u32 v[3:4], s[0:1], v13, v5, 0
	v_add_co_u32_e32 v3, vcc, v11, v3
	v_addc_co_u32_e32 v3, vcc, v16, v4, vcc
	v_addc_co_u32_e32 v4, vcc, 0, v15, vcc
	v_add_co_u32_e32 v5, vcc, v3, v14
	v_addc_co_u32_e32 v7, vcc, 0, v4, vcc
	v_mul_lo_u32 v11, s25, v5
	v_mul_lo_u32 v14, s24, v7
	v_mad_u64_u32 v[3:4], s[0:1], s24, v5, 0
	v_add3_u32 v4, v4, v14, v11
	v_sub_u32_e32 v11, v13, v4
	v_mov_b32_e32 v14, s25
	v_sub_co_u32_e32 v3, vcc, v12, v3
	v_subb_co_u32_e64 v11, s[0:1], v11, v14, vcc
	v_subrev_co_u32_e64 v14, s[0:1], s24, v3
	v_subbrev_co_u32_e64 v11, s[0:1], 0, v11, s[0:1]
	v_cmp_le_u32_e64 s[0:1], s25, v11
	v_cndmask_b32_e64 v15, 0, -1, s[0:1]
	v_cmp_le_u32_e64 s[0:1], s24, v14
	v_cndmask_b32_e64 v14, 0, -1, s[0:1]
	v_cmp_eq_u32_e64 s[0:1], s25, v11
	v_cndmask_b32_e64 v11, v15, v14, s[0:1]
	v_add_co_u32_e64 v14, s[0:1], 2, v5
	v_addc_co_u32_e64 v15, s[0:1], 0, v7, s[0:1]
	v_add_co_u32_e64 v16, s[0:1], 1, v5
	v_addc_co_u32_e64 v17, s[0:1], 0, v7, s[0:1]
	v_subb_co_u32_e32 v4, vcc, v13, v4, vcc
	v_cmp_ne_u32_e64 s[0:1], 0, v11
	v_cmp_le_u32_e32 vcc, s25, v4
	v_cndmask_b32_e64 v11, v17, v15, s[0:1]
	v_cndmask_b32_e64 v15, 0, -1, vcc
	v_cmp_le_u32_e32 vcc, s24, v3
	v_cndmask_b32_e64 v3, 0, -1, vcc
	v_cmp_eq_u32_e32 vcc, s25, v4
	v_cndmask_b32_e32 v3, v15, v3, vcc
	v_cmp_ne_u32_e32 vcc, 0, v3
	v_cndmask_b32_e64 v3, v16, v14, s[0:1]
	v_cndmask_b32_e32 v4, v7, v11, vcc
	v_cndmask_b32_e32 v3, v5, v3, vcc
.LBB0_4:                                ;   in Loop: Header=BB0_2 Depth=1
	s_andn2_saveexec_b64 s[0:1], s[26:27]
	s_cbranch_execz .LBB0_6
; %bb.5:                                ;   in Loop: Header=BB0_2 Depth=1
	v_cvt_f32_u32_e32 v3, s24
	s_sub_i32 s26, 0, s24
	v_rcp_iflag_f32_e32 v3, v3
	v_mul_f32_e32 v3, 0x4f7ffffe, v3
	v_cvt_u32_f32_e32 v3, v3
	v_mul_lo_u32 v4, s26, v3
	v_mul_hi_u32 v4, v3, v4
	v_add_u32_e32 v3, v3, v4
	v_mul_hi_u32 v3, v12, v3
	v_mul_lo_u32 v4, v3, s24
	v_add_u32_e32 v5, 1, v3
	v_sub_u32_e32 v4, v12, v4
	v_subrev_u32_e32 v7, s24, v4
	v_cmp_le_u32_e32 vcc, s24, v4
	v_cndmask_b32_e32 v4, v4, v7, vcc
	v_cndmask_b32_e32 v3, v3, v5, vcc
	v_add_u32_e32 v5, 1, v3
	v_cmp_le_u32_e32 vcc, s24, v4
	v_cndmask_b32_e32 v3, v3, v5, vcc
	v_mov_b32_e32 v4, v10
.LBB0_6:                                ;   in Loop: Header=BB0_2 Depth=1
	s_or_b64 exec, exec, s[0:1]
	v_mul_lo_u32 v5, v4, s24
	v_mul_lo_u32 v7, v3, s25
	v_mad_u64_u32 v[14:15], s[0:1], v3, s24, 0
	s_load_dwordx2 s[0:1], s[6:7], 0x0
	s_load_dwordx2 s[24:25], s[2:3], 0x0
	v_add3_u32 v5, v15, v7, v5
	v_sub_co_u32_e32 v7, vcc, v12, v14
	v_subb_co_u32_e32 v5, vcc, v13, v5, vcc
	s_waitcnt lgkmcnt(0)
	v_mul_lo_u32 v11, s0, v5
	v_mul_lo_u32 v12, s1, v7
	v_mad_u64_u32 v[8:9], s[0:1], s0, v7, v[8:9]
	s_add_u32 s22, s22, 1
	s_addc_u32 s23, s23, 0
	s_add_u32 s2, s2, 8
	v_mul_lo_u32 v5, s24, v5
	v_mul_lo_u32 v13, s25, v7
	v_mad_u64_u32 v[1:2], s[0:1], s24, v7, v[1:2]
	v_add3_u32 v9, v12, v9, v11
	s_addc_u32 s3, s3, 0
	v_mov_b32_e32 v11, s14
	s_add_u32 s6, s6, 8
	v_mov_b32_e32 v12, s15
	s_addc_u32 s7, s7, 0
	v_cmp_ge_u64_e32 vcc, s[22:23], v[11:12]
	s_add_u32 s20, s20, 8
	v_add3_u32 v2, v13, v2, v5
	s_addc_u32 s21, s21, 0
	s_cbranch_vccnz .LBB0_8
; %bb.7:                                ;   in Loop: Header=BB0_2 Depth=1
	v_mov_b32_e32 v13, v4
	v_mov_b32_e32 v12, v3
	s_branch .LBB0_2
.LBB0_8:
	s_load_dwordx2 s[0:1], s[4:5], 0x28
	s_lshl_b64 s[6:7], s[14:15], 3
	s_add_u32 s2, s18, s6
	s_addc_u32 s3, s19, s7
                                        ; implicit-def: $sgpr14
                                        ; implicit-def: $vgpr10
	s_waitcnt lgkmcnt(0)
	v_cmp_gt_u64_e32 vcc, s[0:1], v[3:4]
	v_cmp_le_u64_e64 s[0:1], s[0:1], v[3:4]
	s_and_saveexec_b64 s[4:5], s[0:1]
	s_xor_b64 s[0:1], exec, s[4:5]
; %bb.9:
	s_mov_b32 s4, 0x1999999a
	v_mul_hi_u32 v5, v0, s4
	s_mov_b32 s14, 0
                                        ; implicit-def: $vgpr8_vgpr9
	v_mul_u32_u24_e32 v5, 10, v5
	v_sub_u32_e32 v10, v0, v5
                                        ; implicit-def: $vgpr0
; %bb.10:
	s_or_saveexec_b64 s[4:5], s[0:1]
	s_load_dwordx2 s[2:3], s[2:3], 0x0
	v_mov_b32_e32 v5, s14
                                        ; implicit-def: $vgpr7
                                        ; implicit-def: $vgpr12
                                        ; implicit-def: $vgpr18
                                        ; implicit-def: $vgpr11
                                        ; implicit-def: $vgpr15
                                        ; implicit-def: $vgpr21
                                        ; implicit-def: $vgpr16
                                        ; implicit-def: $vgpr22
                                        ; implicit-def: $vgpr19
                                        ; implicit-def: $vgpr25
                                        ; implicit-def: $vgpr17
                                        ; implicit-def: $vgpr23
                                        ; implicit-def: $vgpr13
                                        ; implicit-def: $vgpr14
                                        ; implicit-def: $vgpr20
                                        ; implicit-def: $vgpr24
	s_xor_b64 exec, exec, s[4:5]
	s_cbranch_execz .LBB0_14
; %bb.11:
	s_add_u32 s0, s16, s6
	s_addc_u32 s1, s17, s7
	s_load_dwordx2 s[0:1], s[0:1], 0x0
	s_mov_b32 s6, 0x1999999a
	v_mul_hi_u32 v5, v0, s6
                                        ; implicit-def: $vgpr23
                                        ; implicit-def: $vgpr17
                                        ; implicit-def: $vgpr25
                                        ; implicit-def: $vgpr19
                                        ; implicit-def: $vgpr22
                                        ; implicit-def: $vgpr16
                                        ; implicit-def: $vgpr21
                                        ; implicit-def: $vgpr15
                                        ; implicit-def: $vgpr18
	s_waitcnt lgkmcnt(0)
	v_mul_lo_u32 v7, s1, v3
	v_mul_lo_u32 v13, s0, v4
	v_mad_u64_u32 v[11:12], s[0:1], s0, v3, 0
	v_mul_u32_u24_e32 v5, 10, v5
	v_sub_u32_e32 v10, v0, v5
	v_add3_u32 v12, v12, v13, v7
	v_lshlrev_b64 v[11:12], 2, v[11:12]
	v_mov_b32_e32 v0, s9
	v_add_co_u32_e64 v5, s[0:1], s8, v11
	v_lshlrev_b64 v[7:8], 2, v[8:9]
	v_addc_co_u32_e64 v0, s[0:1], v0, v12, s[0:1]
	v_add_co_u32_e64 v5, s[0:1], v5, v7
	v_addc_co_u32_e64 v0, s[0:1], v0, v8, s[0:1]
	v_lshlrev_b32_e32 v7, 2, v10
	v_add_co_u32_e64 v7, s[0:1], v5, v7
	v_addc_co_u32_e64 v8, s[0:1], 0, v0, s[0:1]
	global_load_dword v12, v[7:8], off
	global_load_dword v0, v[7:8], off offset:64
	global_load_dword v5, v[7:8], off offset:128
	global_load_dword v9, v[7:8], off offset:192
	global_load_dword v24, v[7:8], off offset:256
	v_cmp_gt_u32_e64 s[0:1], 6, v10
	s_mov_b32 s9, 0x7060302
	s_mov_b32 s8, 0x5040100
                                        ; implicit-def: $vgpr11
	s_and_saveexec_b64 s[6:7], s[0:1]
	s_cbranch_execz .LBB0_13
; %bb.12:
	global_load_dword v11, v[7:8], off offset:40
	global_load_dword v21, v[7:8], off offset:104
	;; [unrolled: 1-line block ×5, first 2 shown]
	s_waitcnt vmcnt(4)
	v_lshrrev_b32_e32 v18, 16, v11
	s_waitcnt vmcnt(3)
	v_lshrrev_b32_e32 v15, 16, v21
	;; [unrolled: 2-line block ×5, first 2 shown]
.LBB0_13:
	s_or_b64 exec, exec, s[6:7]
	s_waitcnt vmcnt(4)
	v_lshrrev_b32_e32 v7, 16, v12
	s_waitcnt vmcnt(2)
	v_perm_b32 v13, v5, v0, s9
	s_waitcnt vmcnt(0)
	v_perm_b32 v14, v9, v24, s9
	v_perm_b32 v20, v5, v0, s8
	;; [unrolled: 1-line block ×3, first 2 shown]
	v_mov_b32_e32 v5, v10
.LBB0_14:
	s_or_b64 exec, exec, s[4:5]
	s_mov_b32 s0, 0xaaaaaaab
	v_mul_hi_u32 v0, v6, s0
	v_add_f16_e32 v9, v20, v12
	v_add_f16_sdwa v9, v9, v20 dst_sel:DWORD dst_unused:UNUSED_PAD src0_sel:DWORD src1_sel:WORD_1
	v_mad_u32_u24 v8, v10, 10, 0
	v_lshrrev_b32_e32 v0, 2, v0
	v_mul_lo_u32 v0, v0, 6
	v_add_f16_sdwa v9, v9, v24 dst_sel:DWORD dst_unused:UNUSED_PAD src0_sel:DWORD src1_sel:WORD_1
	v_add_f16_e32 v9, v9, v24
	v_pk_add_f16 v27, v13, v14 neg_lo:[0,1] neg_hi:[0,1]
	v_sub_u32_e32 v0, v6, v0
	v_mul_u32_u24_e32 v0, 0x50, v0
	v_lshl_add_u32 v6, v0, 1, v8
	ds_write_b16 v6, v9
	v_pk_add_f16 v9, v20, v24
	s_movk_i32 s7, 0x3b9c
	v_pk_fma_f16 v9, v9, -0.5, v12 op_sel_hi:[1,0,0]
	v_pk_mul_f16 v12, v27, s7 op_sel_hi:[1,0]
	v_pk_add_f16 v29, v9, v12 op_sel:[0,1] op_sel_hi:[1,0]
	v_pk_add_f16 v9, v9, v12 op_sel:[0,1] op_sel_hi:[1,0] neg_lo:[0,1] neg_hi:[0,1]
	s_mov_b32 s6, 0xffff
	v_pk_add_f16 v26, v20, v20 op_sel:[1,0] op_sel_hi:[0,1] neg_lo:[0,1] neg_hi:[0,1]
	v_pk_add_f16 v28, v24, v24 op_sel:[1,0] op_sel_hi:[0,1] neg_lo:[0,1] neg_hi:[0,1]
	v_bfi_b32 v12, s6, v9, v29
	s_movk_i32 s9, 0x38b4
	v_pk_add_f16 v28, v26, v28
	v_pk_fma_f16 v12, v27, s9, v12 op_sel_hi:[1,0,1]
	s_movk_i32 s8, 0x34f2
	v_bfi_b32 v9, s6, v29, v9
	v_pk_fma_f16 v12, v28, s8, v12 op_sel_hi:[1,0,1]
	v_pk_fma_f16 v9, v27, s9, v9 op_sel_hi:[1,0,1] neg_lo:[1,0,0] neg_hi:[1,0,0]
	v_alignbit_b32 v26, v12, v12, 16
	v_pk_fma_f16 v27, v28, s8, v9 op_sel_hi:[1,0,1]
	v_cmp_gt_u32_e64 s[0:1], 6, v10
	ds_write_b64 v6, v[26:27] offset:2
	s_and_saveexec_b64 s[4:5], s[0:1]
	s_cbranch_execz .LBB0_16
; %bb.15:
	v_sub_f16_e32 v9, v22, v21
	v_sub_f16_e32 v12, v23, v25
	v_add_f16_e32 v9, v9, v12
	v_add_f16_e32 v12, v21, v25
	v_fma_f16 v12, v12, -0.5, v11
	v_sub_f16_e32 v26, v16, v17
	s_mov_b32 s15, 0xbb9c
	v_fma_f16 v27, v26, s7, v12
	v_sub_f16_e32 v28, v15, v19
	s_mov_b32 s14, 0xb8b4
	v_fma_f16 v12, v26, s15, v12
	v_fma_f16 v27, v28, s14, v27
	v_fma_f16 v12, v28, s9, v12
	v_fma_f16 v27, v9, s8, v27
	v_fma_f16 v9, v9, s8, v12
	v_sub_f16_e32 v12, v21, v22
	v_sub_f16_e32 v29, v25, v23
	v_add_f16_e32 v12, v12, v29
	v_add_f16_e32 v29, v22, v23
	v_fma_f16 v29, v29, -0.5, v11
	v_add_f16_e32 v11, v11, v21
	v_fma_f16 v30, v28, s15, v29
	v_fma_f16 v28, v28, s7, v29
	v_add_f16_e32 v11, v11, v22
	v_fma_f16 v30, v26, s14, v30
	v_fma_f16 v26, v26, s9, v28
	v_add_f16_e32 v11, v11, v23
	v_fma_f16 v26, v12, s8, v26
	v_add_f16_e32 v11, v25, v11
	v_fma_f16 v30, v12, s8, v30
	v_pack_b32_f16 v12, v9, v27
	v_pack_b32_f16 v11, v11, v26
	ds_write_b64 v6, v[11:12] offset:100
	ds_write_b16 v6, v30 offset:108
.LBB0_16:
	s_or_b64 exec, exec, s[4:5]
	v_add_f16_e32 v9, v13, v7
	v_add_f16_sdwa v9, v9, v13 dst_sel:DWORD dst_unused:UNUSED_PAD src0_sel:DWORD src1_sel:WORD_1
	v_add_f16_sdwa v9, v9, v14 dst_sel:DWORD dst_unused:UNUSED_PAD src0_sel:DWORD src1_sel:WORD_1
	v_pk_add_f16 v11, v13, v14
	v_add_f16_e32 v30, v9, v14
	v_pk_add_f16 v9, v20, v24 neg_lo:[0,1] neg_hi:[0,1]
	v_pk_fma_f16 v7, v11, -0.5, v7 op_sel_hi:[1,0,0]
	v_pk_fma_f16 v11, v9, s7, v7 op_sel:[0,0,1] op_sel_hi:[1,0,0] neg_lo:[1,0,0] neg_hi:[1,0,0]
	v_pk_fma_f16 v7, v9, s7, v7 op_sel:[0,0,1] op_sel_hi:[1,0,0]
	v_bfi_b32 v12, s6, v11, v7
	v_pk_mul_f16 v9, v9, s9 op_sel_hi:[1,0]
	v_bfi_b32 v7, s6, v7, v11
	v_pk_add_f16 v12, v12, v9 op_sel:[0,1] op_sel_hi:[1,0] neg_lo:[0,1] neg_hi:[0,1]
	v_pk_add_f16 v13, v13, v13 op_sel:[0,1] op_sel_hi:[1,0] neg_lo:[0,1] neg_hi:[0,1]
	;; [unrolled: 1-line block ×3, first 2 shown]
	v_pk_add_f16 v7, v9, v7 op_sel:[1,0] op_sel_hi:[0,1]
	v_lshlrev_b32_e32 v9, 1, v0
	v_lshlrev_b32_e32 v0, 1, v10
	;; [unrolled: 1-line block ×3, first 2 shown]
	v_pk_add_f16 v13, v13, v14
	v_add3_u32 v0, 0, v9, v0
	v_sub_u32_e32 v8, v8, v11
	v_pk_fma_f16 v29, v13, s8, v12 op_sel_hi:[1,0,1]
	v_pk_fma_f16 v7, v13, s8, v7 op_sel_hi:[1,0,1]
	s_waitcnt lgkmcnt(0)
	; wave barrier
	s_waitcnt lgkmcnt(0)
	v_add_u32_e32 v8, v8, v9
	ds_read_u16 v14, v0
	ds_read_u16 v13, v8 offset:20
	ds_read_u16 v12, v8 offset:40
	;; [unrolled: 1-line block ×7, first 2 shown]
	v_add_u32_e32 v28, 10, v10
	s_waitcnt lgkmcnt(0)
	; wave barrier
	s_waitcnt lgkmcnt(0)
	ds_write_b16 v6, v30
	v_alignbit_b32 v30, v7, v7, 16
	ds_write_b64 v6, v[29:30] offset:2
	s_and_saveexec_b64 s[4:5], s[0:1]
	s_cbranch_execz .LBB0_18
; %bb.17:
	v_add_f16_e32 v7, v16, v17
	v_fma_f16 v7, v7, -0.5, v18
	v_sub_f16_e32 v21, v21, v25
	s_mov_b32 s0, 0xbb9c
	v_fma_f16 v25, v21, s0, v7
	v_sub_f16_e32 v22, v22, v23
	s_mov_b32 s1, 0xb8b4
	v_fma_f16 v23, v22, s1, v25
	v_sub_f16_e32 v25, v15, v16
	v_sub_f16_e32 v29, v19, v17
	v_fma_f16 v7, v21, s7, v7
	s_movk_i32 s8, 0x38b4
	v_add_f16_e32 v25, v25, v29
	s_movk_i32 s6, 0x34f2
	v_fma_f16 v7, v22, s8, v7
	v_fma_f16 v23, v25, s6, v23
	;; [unrolled: 1-line block ×3, first 2 shown]
	v_add_f16_e32 v7, v15, v19
	v_add_f16_e32 v6, v18, v15
	v_fma_f16 v7, v7, -0.5, v18
	v_add_f16_e32 v6, v6, v16
	v_fma_f16 v18, v22, s7, v7
	v_sub_f16_e32 v15, v16, v15
	v_sub_f16_e32 v16, v17, v19
	v_fma_f16 v7, v22, s0, v7
	v_add_f16_e32 v6, v6, v17
	v_fma_f16 v18, v21, s1, v18
	v_add_f16_e32 v15, v15, v16
	;; [unrolled: 2-line block ×3, first 2 shown]
	v_fma_f16 v16, v15, s6, v18
	v_fma_f16 v7, v15, s6, v7
	v_mul_u32_u24_e32 v15, 10, v28
	v_add3_u32 v15, 0, v15, v9
	v_pack_b32_f16 v7, v16, v7
	v_pack_b32_f16 v6, v6, v23
	ds_write_b64 v15, v[6:7]
	ds_write_b16 v15, v25 offset:8
.LBB0_18:
	s_or_b64 exec, exec, s[4:5]
	v_add_u32_e32 v6, -5, v10
	v_cmp_gt_u32_e64 s[0:1], 5, v10
	v_cndmask_b32_e64 v6, v6, v10, s[0:1]
	v_mov_b32_e32 v7, 0
	v_lshlrev_b64 v[15:16], 2, v[6:7]
	v_mov_b32_e32 v17, s13
	v_add_co_u32_e64 v15, s[0:1], s12, v15
	v_addc_co_u32_e64 v16, s[0:1], v17, v16, s[0:1]
	s_movk_i32 s0, 0xcd
	v_mul_lo_u16_sdwa v17, v28, s0 dst_sel:DWORD dst_unused:UNUSED_PAD src0_sel:BYTE_0 src1_sel:DWORD
	s_waitcnt lgkmcnt(0)
	; wave barrier
	s_waitcnt lgkmcnt(0)
	v_lshrrev_b16_e32 v17, 10, v17
	global_load_dword v15, v[15:16], off
	v_add_u16_e32 v16, 20, v10
	v_mul_lo_u16_e32 v18, 5, v17
	v_mul_lo_u16_sdwa v22, v16, s0 dst_sel:DWORD dst_unused:UNUSED_PAD src0_sel:BYTE_0 src1_sel:DWORD
	v_sub_u16_e32 v18, v28, v18
	v_mov_b32_e32 v19, 2
	v_lshrrev_b16_e32 v22, 10, v22
	v_lshlrev_b32_sdwa v21, v19, v18 dst_sel:DWORD dst_unused:UNUSED_PAD src0_sel:DWORD src1_sel:BYTE_0
	v_mul_lo_u16_e32 v23, 5, v22
	global_load_dword v21, v21, s[12:13]
	v_sub_u16_e32 v16, v16, v23
	v_lshlrev_b32_sdwa v23, v19, v16 dst_sel:DWORD dst_unused:UNUSED_PAD src0_sel:DWORD src1_sel:BYTE_0
	global_load_dword v23, v23, s[12:13]
	v_add_u16_e32 v25, 30, v10
	v_mul_lo_u16_sdwa v28, v25, s0 dst_sel:DWORD dst_unused:UNUSED_PAD src0_sel:BYTE_0 src1_sel:DWORD
	v_lshrrev_b16_e32 v28, 10, v28
	v_mul_lo_u16_e32 v29, 5, v28
	v_sub_u16_e32 v25, v25, v29
	v_lshlrev_b32_sdwa v19, v19, v25 dst_sel:DWORD dst_unused:UNUSED_PAD src0_sel:DWORD src1_sel:BYTE_0
	global_load_dword v19, v19, s[12:13]
	ds_read_u16 v29, v8 offset:80
	ds_read_u16 v30, v8 offset:100
	;; [unrolled: 1-line block ×5, first 2 shown]
	v_cmp_lt_u32_e64 s[0:1], 4, v10
	v_lshlrev_b32_e32 v6, 1, v6
	v_mad_u32_u24 v17, v17, 20, 0
	v_mad_u32_u24 v22, v22, 20, 0
	s_waitcnt vmcnt(3) lgkmcnt(4)
	v_mul_f16_sdwa v34, v29, v15 dst_sel:DWORD dst_unused:UNUSED_PAD src0_sel:DWORD src1_sel:WORD_1
	v_fma_f16 v34, v27, v15, -v34
	v_mul_f16_sdwa v27, v27, v15 dst_sel:DWORD dst_unused:UNUSED_PAD src0_sel:DWORD src1_sel:WORD_1
	v_fma_f16 v15, v29, v15, v27
	s_waitcnt vmcnt(2) lgkmcnt(3)
	v_mul_f16_sdwa v27, v30, v21 dst_sel:DWORD dst_unused:UNUSED_PAD src0_sel:DWORD src1_sel:WORD_1
	v_fma_f16 v27, v26, v21, -v27
	v_mul_f16_sdwa v26, v26, v21 dst_sel:DWORD dst_unused:UNUSED_PAD src0_sel:DWORD src1_sel:WORD_1
	v_fma_f16 v21, v30, v21, v26
	;; [unrolled: 5-line block ×3, first 2 shown]
	v_cndmask_b32_e64 v24, 0, 20, s[0:1]
	v_add_u32_e32 v24, 0, v24
	v_add3_u32 v24, v24, v6, v9
	v_mov_b32_e32 v6, 1
	v_lshlrev_b32_sdwa v18, v6, v18 dst_sel:DWORD dst_unused:UNUSED_PAD src0_sel:DWORD src1_sel:BYTE_0
	v_add3_u32 v17, v17, v18, v9
	s_waitcnt vmcnt(0) lgkmcnt(1)
	v_mul_f16_sdwa v18, v32, v19 dst_sel:DWORD dst_unused:UNUSED_PAD src0_sel:DWORD src1_sel:WORD_1
	v_fma_f16 v18, v20, v19, -v18
	v_mul_f16_sdwa v20, v20, v19 dst_sel:DWORD dst_unused:UNUSED_PAD src0_sel:DWORD src1_sel:WORD_1
	v_fma_f16 v19, v32, v19, v20
	ds_read_u16 v20, v0
	ds_read_u16 v29, v8 offset:20
	ds_read_u16 v30, v8 offset:40
	v_sub_f16_e32 v31, v14, v34
	s_waitcnt lgkmcnt(0)
	; wave barrier
	s_waitcnt lgkmcnt(0)
	v_fma_f16 v14, v14, 2.0, -v31
	ds_write_b16 v24, v31 offset:10
	v_sub_f16_e32 v31, v20, v15
	v_sub_f16_e32 v15, v13, v27
	v_fma_f16 v13, v13, 2.0, -v15
	v_sub_f16_e32 v26, v12, v26
	ds_write_b16 v24, v14
	ds_write_b16 v17, v15 offset:10
	ds_write_b16 v17, v13
	v_lshlrev_b32_sdwa v13, v6, v16 dst_sel:DWORD dst_unused:UNUSED_PAD src0_sel:DWORD src1_sel:BYTE_0
	v_fma_f16 v12, v12, 2.0, -v26
	v_add3_u32 v22, v22, v13, v9
	v_sub_f16_e32 v18, v11, v18
	ds_write_b16 v22, v12
	ds_write_b16 v22, v26 offset:10
	v_mad_u32_u24 v12, v28, 20, 0
	v_lshlrev_b32_sdwa v6, v6, v25 dst_sel:DWORD dst_unused:UNUSED_PAD src0_sel:DWORD src1_sel:BYTE_0
	v_fma_f16 v11, v11, 2.0, -v18
	v_add3_u32 v25, v12, v6, v9
	ds_write_b16 v25, v11
	ds_write_b16 v25, v18 offset:10
	s_waitcnt lgkmcnt(0)
	; wave barrier
	s_waitcnt lgkmcnt(0)
	ds_read_u16 v6, v0
	ds_read_u16 v16, v8 offset:20
	ds_read_u16 v13, v8 offset:40
	;; [unrolled: 1-line block ×7, first 2 shown]
	v_fma_f16 v20, v20, 2.0, -v31
	v_sub_f16_e32 v21, v29, v21
	v_sub_f16_e32 v23, v30, v23
	;; [unrolled: 1-line block ×3, first 2 shown]
	v_fma_f16 v27, v29, 2.0, -v21
	v_fma_f16 v29, v30, 2.0, -v23
	;; [unrolled: 1-line block ×3, first 2 shown]
	s_waitcnt lgkmcnt(0)
	; wave barrier
	s_waitcnt lgkmcnt(0)
	ds_write_b16 v24, v20
	ds_write_b16 v24, v31 offset:10
	ds_write_b16 v17, v27
	ds_write_b16 v17, v21 offset:10
	;; [unrolled: 2-line block ×4, first 2 shown]
	s_waitcnt lgkmcnt(0)
	; wave barrier
	s_waitcnt lgkmcnt(0)
	s_and_saveexec_b64 s[0:1], vcc
	s_cbranch_execz .LBB0_20
; %bb.19:
	v_mul_u32_u24_e32 v10, 7, v10
	v_lshlrev_b32_e32 v10, 2, v10
	global_load_dwordx4 v[17:20], v10, s[12:13] offset:20
	global_load_dwordx3 v[21:23], v10, s[12:13] offset:36
	v_mul_lo_u32 v10, s3, v3
	v_mul_lo_u32 v24, s2, v4
	v_mad_u64_u32 v[3:4], s[0:1], s2, v3, 0
	ds_read_u16 v25, v8 offset:20
	ds_read_u16 v26, v8 offset:40
	;; [unrolled: 1-line block ×4, first 2 shown]
	s_movk_i32 s0, 0x39a8
	v_add3_u32 v4, v4, v24, v10
	ds_read_u16 v10, v8 offset:140
	ds_read_u16 v24, v8 offset:120
	;; [unrolled: 1-line block ×3, first 2 shown]
	ds_read_u16 v0, v0
	v_lshlrev_b64 v[3:4], 2, v[3:4]
	s_mov_b32 s1, 0xb9a8
	v_add_co_u32_e32 v3, vcc, s10, v3
	s_waitcnt vmcnt(1) lgkmcnt(7)
	v_mul_f16_sdwa v29, v25, v17 dst_sel:DWORD dst_unused:UNUSED_PAD src0_sel:DWORD src1_sel:WORD_1
	v_fma_f16 v29, v16, v17, -v29
	v_mul_f16_sdwa v16, v16, v17 dst_sel:DWORD dst_unused:UNUSED_PAD src0_sel:DWORD src1_sel:WORD_1
	v_fma_f16 v16, v17, v25, v16
	v_mul_f16_sdwa v17, v15, v19 dst_sel:DWORD dst_unused:UNUSED_PAD src0_sel:DWORD src1_sel:WORD_1
	s_waitcnt lgkmcnt(5)
	v_mul_f16_sdwa v25, v27, v19 dst_sel:DWORD dst_unused:UNUSED_PAD src0_sel:DWORD src1_sel:WORD_1
	v_fma_f16 v17, v27, v19, v17
	v_fma_f16 v15, v15, v19, -v25
	s_waitcnt lgkmcnt(4)
	v_mul_f16_sdwa v19, v28, v20 dst_sel:DWORD dst_unused:UNUSED_PAD src0_sel:DWORD src1_sel:WORD_1
	v_fma_f16 v19, v14, v20, -v19
	v_mul_f16_sdwa v14, v14, v20 dst_sel:DWORD dst_unused:UNUSED_PAD src0_sel:DWORD src1_sel:WORD_1
	v_fma_f16 v14, v20, v28, v14
	v_mul_f16_sdwa v20, v13, v18 dst_sel:DWORD dst_unused:UNUSED_PAD src0_sel:DWORD src1_sel:WORD_1
	v_mul_f16_sdwa v25, v26, v18 dst_sel:DWORD dst_unused:UNUSED_PAD src0_sel:DWORD src1_sel:WORD_1
	v_fma_f16 v20, v26, v18, v20
	v_fma_f16 v13, v13, v18, -v25
	s_waitcnt vmcnt(0)
	v_mul_f16_sdwa v18, v9, v22 dst_sel:DWORD dst_unused:UNUSED_PAD src0_sel:DWORD src1_sel:WORD_1
	s_waitcnt lgkmcnt(1)
	v_mul_f16_sdwa v25, v8, v21 dst_sel:DWORD dst_unused:UNUSED_PAD src0_sel:DWORD src1_sel:WORD_1
	v_mul_f16_sdwa v26, v11, v23 dst_sel:DWORD dst_unused:UNUSED_PAD src0_sel:DWORD src1_sel:WORD_1
	;; [unrolled: 1-line block ×3, first 2 shown]
	v_fma_f16 v18, v24, v22, v18
	v_mul_f16_sdwa v24, v24, v22 dst_sel:DWORD dst_unused:UNUSED_PAD src0_sel:DWORD src1_sel:WORD_1
	v_mul_f16_sdwa v28, v10, v23 dst_sel:DWORD dst_unused:UNUSED_PAD src0_sel:DWORD src1_sel:WORD_1
	v_fma_f16 v12, v12, v21, -v25
	v_fma_f16 v10, v10, v23, v26
	v_fma_f16 v8, v21, v8, v27
	v_fma_f16 v9, v9, v22, -v24
	v_sub_f16_e32 v19, v6, v19
	v_sub_f16_e32 v18, v20, v18
	;; [unrolled: 1-line block ×5, first 2 shown]
	s_waitcnt lgkmcnt(0)
	v_sub_f16_e32 v14, v0, v14
	v_sub_f16_e32 v9, v13, v9
	v_fma_f16 v11, v11, v23, -v28
	v_sub_f16_e32 v22, v12, v10
	v_add_f16_e32 v24, v9, v14
	v_fma_f16 v6, v6, 2.0, -v19
	v_fma_f16 v9, v13, 2.0, -v9
	;; [unrolled: 1-line block ×6, first 2 shown]
	v_sub_f16_e32 v11, v15, v11
	v_sub_f16_e32 v9, v6, v9
	;; [unrolled: 1-line block ×4, first 2 shown]
	v_add_f16_e32 v23, v8, v11
	v_fma_f16 v17, v29, 2.0, -v12
	v_fma_f16 v11, v15, 2.0, -v11
	v_sub_f16_e32 v20, v9, v10
	v_fma_f16 v0, v0, 2.0, -v16
	v_fma_f16 v10, v13, 2.0, -v10
	v_sub_f16_e32 v21, v19, v18
	v_fma_f16 v18, v23, s0, v24
	v_sub_f16_e32 v11, v17, v11
	v_sub_f16_e32 v10, v0, v10
	v_fma_f16 v15, v22, s0, v21
	v_fma_f16 v12, v12, 2.0, -v22
	v_fma_f16 v18, v22, s0, v18
	v_add_f16_e32 v22, v16, v11
	v_fma_f16 v11, v17, 2.0, -v11
	v_fma_f16 v17, v0, 2.0, -v10
	v_mov_b32_e32 v0, s11
	v_fma_f16 v6, v6, 2.0, -v9
	v_addc_co_u32_e32 v4, vcc, v0, v4, vcc
	v_lshlrev_b64 v[0:1], 2, v[1:2]
	v_sub_f16_e32 v11, v6, v11
	v_fma_f16 v13, v16, 2.0, -v22
	v_fma_f16 v16, v6, 2.0, -v11
	v_mov_b32_e32 v6, v7
	v_add_co_u32_e32 v2, vcc, v3, v0
	v_fma_f16 v19, v19, 2.0, -v21
	v_fma_f16 v8, v8, 2.0, -v23
	;; [unrolled: 1-line block ×3, first 2 shown]
	v_addc_co_u32_e32 v3, vcc, v4, v1, vcc
	v_lshlrev_b64 v[0:1], 2, v[5:6]
	v_fma_f16 v15, v23, s1, v15
	v_fma_f16 v23, v12, s1, v19
	;; [unrolled: 1-line block ×5, first 2 shown]
	v_add_co_u32_e32 v0, vcc, v2, v0
	v_fma_f16 v19, v19, 2.0, -v8
	v_fma_f16 v14, v14, 2.0, -v12
	v_addc_co_u32_e32 v1, vcc, v3, v1, vcc
	v_pack_b32_f16 v2, v16, v17
	v_fma_f16 v9, v9, 2.0, -v20
	global_store_dword v[0:1], v2, off
	v_pack_b32_f16 v2, v19, v14
	v_fma_f16 v21, v21, 2.0, -v15
	v_fma_f16 v24, v24, 2.0, -v18
	global_store_dword v[0:1], v2, off offset:40
	v_pack_b32_f16 v2, v9, v13
	global_store_dword v[0:1], v2, off offset:80
	v_pack_b32_f16 v2, v21, v24
	;; [unrolled: 2-line block ×6, first 2 shown]
	global_store_dword v[0:1], v2, off offset:280
.LBB0_20:
	s_endpgm
	.section	.rodata,"a",@progbits
	.p2align	6, 0x0
	.amdhsa_kernel fft_rtc_fwd_len80_factors_5_2_8_wgs_60_tpt_10_halfLds_half_op_CI_CI_unitstride_sbrr_dirReg
		.amdhsa_group_segment_fixed_size 0
		.amdhsa_private_segment_fixed_size 0
		.amdhsa_kernarg_size 104
		.amdhsa_user_sgpr_count 6
		.amdhsa_user_sgpr_private_segment_buffer 1
		.amdhsa_user_sgpr_dispatch_ptr 0
		.amdhsa_user_sgpr_queue_ptr 0
		.amdhsa_user_sgpr_kernarg_segment_ptr 1
		.amdhsa_user_sgpr_dispatch_id 0
		.amdhsa_user_sgpr_flat_scratch_init 0
		.amdhsa_user_sgpr_private_segment_size 0
		.amdhsa_uses_dynamic_stack 0
		.amdhsa_system_sgpr_private_segment_wavefront_offset 0
		.amdhsa_system_sgpr_workgroup_id_x 1
		.amdhsa_system_sgpr_workgroup_id_y 0
		.amdhsa_system_sgpr_workgroup_id_z 0
		.amdhsa_system_sgpr_workgroup_info 0
		.amdhsa_system_vgpr_workitem_id 0
		.amdhsa_next_free_vgpr 35
		.amdhsa_next_free_sgpr 28
		.amdhsa_reserve_vcc 1
		.amdhsa_reserve_flat_scratch 0
		.amdhsa_float_round_mode_32 0
		.amdhsa_float_round_mode_16_64 0
		.amdhsa_float_denorm_mode_32 3
		.amdhsa_float_denorm_mode_16_64 3
		.amdhsa_dx10_clamp 1
		.amdhsa_ieee_mode 1
		.amdhsa_fp16_overflow 0
		.amdhsa_exception_fp_ieee_invalid_op 0
		.amdhsa_exception_fp_denorm_src 0
		.amdhsa_exception_fp_ieee_div_zero 0
		.amdhsa_exception_fp_ieee_overflow 0
		.amdhsa_exception_fp_ieee_underflow 0
		.amdhsa_exception_fp_ieee_inexact 0
		.amdhsa_exception_int_div_zero 0
	.end_amdhsa_kernel
	.text
.Lfunc_end0:
	.size	fft_rtc_fwd_len80_factors_5_2_8_wgs_60_tpt_10_halfLds_half_op_CI_CI_unitstride_sbrr_dirReg, .Lfunc_end0-fft_rtc_fwd_len80_factors_5_2_8_wgs_60_tpt_10_halfLds_half_op_CI_CI_unitstride_sbrr_dirReg
                                        ; -- End function
	.section	.AMDGPU.csdata,"",@progbits
; Kernel info:
; codeLenInByte = 4300
; NumSgprs: 32
; NumVgprs: 35
; ScratchSize: 0
; MemoryBound: 0
; FloatMode: 240
; IeeeMode: 1
; LDSByteSize: 0 bytes/workgroup (compile time only)
; SGPRBlocks: 3
; VGPRBlocks: 8
; NumSGPRsForWavesPerEU: 32
; NumVGPRsForWavesPerEU: 35
; Occupancy: 7
; WaveLimiterHint : 1
; COMPUTE_PGM_RSRC2:SCRATCH_EN: 0
; COMPUTE_PGM_RSRC2:USER_SGPR: 6
; COMPUTE_PGM_RSRC2:TRAP_HANDLER: 0
; COMPUTE_PGM_RSRC2:TGID_X_EN: 1
; COMPUTE_PGM_RSRC2:TGID_Y_EN: 0
; COMPUTE_PGM_RSRC2:TGID_Z_EN: 0
; COMPUTE_PGM_RSRC2:TIDIG_COMP_CNT: 0
	.type	__hip_cuid_51c848a857a6ca8e,@object ; @__hip_cuid_51c848a857a6ca8e
	.section	.bss,"aw",@nobits
	.globl	__hip_cuid_51c848a857a6ca8e
__hip_cuid_51c848a857a6ca8e:
	.byte	0                               ; 0x0
	.size	__hip_cuid_51c848a857a6ca8e, 1

	.ident	"AMD clang version 19.0.0git (https://github.com/RadeonOpenCompute/llvm-project roc-6.4.0 25133 c7fe45cf4b819c5991fe208aaa96edf142730f1d)"
	.section	".note.GNU-stack","",@progbits
	.addrsig
	.addrsig_sym __hip_cuid_51c848a857a6ca8e
	.amdgpu_metadata
---
amdhsa.kernels:
  - .args:
      - .actual_access:  read_only
        .address_space:  global
        .offset:         0
        .size:           8
        .value_kind:     global_buffer
      - .offset:         8
        .size:           8
        .value_kind:     by_value
      - .actual_access:  read_only
        .address_space:  global
        .offset:         16
        .size:           8
        .value_kind:     global_buffer
      - .actual_access:  read_only
        .address_space:  global
        .offset:         24
        .size:           8
        .value_kind:     global_buffer
      - .actual_access:  read_only
        .address_space:  global
        .offset:         32
        .size:           8
        .value_kind:     global_buffer
      - .offset:         40
        .size:           8
        .value_kind:     by_value
      - .actual_access:  read_only
        .address_space:  global
        .offset:         48
        .size:           8
        .value_kind:     global_buffer
      - .actual_access:  read_only
        .address_space:  global
        .offset:         56
        .size:           8
        .value_kind:     global_buffer
      - .offset:         64
        .size:           4
        .value_kind:     by_value
      - .actual_access:  read_only
        .address_space:  global
        .offset:         72
        .size:           8
        .value_kind:     global_buffer
      - .actual_access:  read_only
        .address_space:  global
        .offset:         80
        .size:           8
        .value_kind:     global_buffer
      - .actual_access:  read_only
        .address_space:  global
        .offset:         88
        .size:           8
        .value_kind:     global_buffer
      - .actual_access:  write_only
        .address_space:  global
        .offset:         96
        .size:           8
        .value_kind:     global_buffer
    .group_segment_fixed_size: 0
    .kernarg_segment_align: 8
    .kernarg_segment_size: 104
    .language:       OpenCL C
    .language_version:
      - 2
      - 0
    .max_flat_workgroup_size: 60
    .name:           fft_rtc_fwd_len80_factors_5_2_8_wgs_60_tpt_10_halfLds_half_op_CI_CI_unitstride_sbrr_dirReg
    .private_segment_fixed_size: 0
    .sgpr_count:     32
    .sgpr_spill_count: 0
    .symbol:         fft_rtc_fwd_len80_factors_5_2_8_wgs_60_tpt_10_halfLds_half_op_CI_CI_unitstride_sbrr_dirReg.kd
    .uniform_work_group_size: 1
    .uses_dynamic_stack: false
    .vgpr_count:     35
    .vgpr_spill_count: 0
    .wavefront_size: 64
amdhsa.target:   amdgcn-amd-amdhsa--gfx906
amdhsa.version:
  - 1
  - 2
...

	.end_amdgpu_metadata
